;; amdgpu-corpus repo=ROCm/rocPRIM kind=compiled arch=gfx90a opt=O3
	.text
	.amdgcn_target "amdgcn-amd-amdhsa--gfx90a"
	.amdhsa_code_object_version 6
	.section	.text._Z29example_global_memory_storageILj256EiEvPKT0_PS0_PN7rocprim17ROCPRIM_304000_NS10block_scanIS0_XT_ELNS5_20block_scan_algorithmE0ELj1ELj1EE12storage_typeE,"axG",@progbits,_Z29example_global_memory_storageILj256EiEvPKT0_PS0_PN7rocprim17ROCPRIM_304000_NS10block_scanIS0_XT_ELNS5_20block_scan_algorithmE0ELj1ELj1EE12storage_typeE,comdat
	.protected	_Z29example_global_memory_storageILj256EiEvPKT0_PS0_PN7rocprim17ROCPRIM_304000_NS10block_scanIS0_XT_ELNS5_20block_scan_algorithmE0ELj1ELj1EE12storage_typeE ; -- Begin function _Z29example_global_memory_storageILj256EiEvPKT0_PS0_PN7rocprim17ROCPRIM_304000_NS10block_scanIS0_XT_ELNS5_20block_scan_algorithmE0ELj1ELj1EE12storage_typeE
	.globl	_Z29example_global_memory_storageILj256EiEvPKT0_PS0_PN7rocprim17ROCPRIM_304000_NS10block_scanIS0_XT_ELNS5_20block_scan_algorithmE0ELj1ELj1EE12storage_typeE
	.p2align	8
	.type	_Z29example_global_memory_storageILj256EiEvPKT0_PS0_PN7rocprim17ROCPRIM_304000_NS10block_scanIS0_XT_ELNS5_20block_scan_algorithmE0ELj1ELj1EE12storage_typeE,@function
_Z29example_global_memory_storageILj256EiEvPKT0_PS0_PN7rocprim17ROCPRIM_304000_NS10block_scanIS0_XT_ELNS5_20block_scan_algorithmE0ELj1ELj1EE12storage_typeE: ; @_Z29example_global_memory_storageILj256EiEvPKT0_PS0_PN7rocprim17ROCPRIM_304000_NS10block_scanIS0_XT_ELNS5_20block_scan_algorithmE0ELj1ELj1EE12storage_typeE
; %bb.0:
	s_load_dwordx4 s[0:3], s[4:5], 0x0
	s_load_dwordx2 s[8:9], s[4:5], 0x10
	v_lshl_or_b32 v2, s6, 8, v0
	v_mov_b32_e32 v3, 0
	v_lshlrev_b64 v[2:3], 2, v[2:3]
	s_waitcnt lgkmcnt(0)
	v_mov_b32_e32 v1, s1
	v_add_co_u32_e32 v4, vcc, s0, v2
	v_addc_co_u32_e32 v5, vcc, v1, v3, vcc
	global_load_dword v5, v[4:5], off
	v_mbcnt_lo_u32_b32 v1, -1, 0
	v_mbcnt_hi_u32_b32 v1, -1, v1
	v_and_b32_e32 v7, 15, v1
	v_cmp_ne_u32_e32 vcc, 0, v7
	v_bfe_i32 v8, v1, 4, 1
	s_mov_b32 s7, 0
	s_lshl_b64 s[0:1], s[6:7], 4
	v_or_b32_e32 v6, 63, v0
	s_add_u32 s0, s8, s0
	v_lshrrev_b32_e32 v4, 6, v0
	s_addc_u32 s1, s9, s1
	s_waitcnt vmcnt(0)
	v_mov_b32_dpp v9, v5 row_shr:1 row_mask:0xf bank_mask:0xf
	v_cndmask_b32_e32 v9, 0, v9, vcc
	v_add_u32_e32 v5, v9, v5
	v_cmp_lt_u32_e32 vcc, 1, v7
	s_nop 0
	v_mov_b32_dpp v9, v5 row_shr:2 row_mask:0xf bank_mask:0xf
	v_cndmask_b32_e32 v9, 0, v9, vcc
	v_add_u32_e32 v5, v5, v9
	v_cmp_lt_u32_e32 vcc, 3, v7
	s_nop 0
	;; [unrolled: 5-line block ×4, first 2 shown]
	v_mov_b32_dpp v7, v5 row_bcast:15 row_mask:0xf bank_mask:0xf
	v_and_b32_e32 v7, v8, v7
	v_add_u32_e32 v5, v5, v7
	s_nop 1
	v_mov_b32_dpp v7, v5 row_bcast:31 row_mask:0xf bank_mask:0xf
	v_cndmask_b32_e32 v7, 0, v7, vcc
	v_add_u32_e32 v5, v5, v7
	v_cmp_eq_u32_e32 vcc, v6, v0
	s_and_saveexec_b64 s[4:5], vcc
	s_cbranch_execz .LBB0_2
; %bb.1:
	v_lshlrev_b32_e32 v6, 2, v4
	global_store_dword v6, v5, s[0:1]
.LBB0_2:
	s_or_b64 exec, exec, s[4:5]
	v_cmp_gt_u32_e32 vcc, 4, v0
	s_barrier
	s_and_saveexec_b64 s[4:5], vcc
	s_cbranch_execz .LBB0_4
; %bb.3:
	v_lshlrev_b32_e32 v6, 2, v0
	global_load_dword v7, v6, s[0:1]
	v_and_b32_e32 v1, 3, v1
	v_cmp_ne_u32_e32 vcc, 0, v1
	s_waitcnt vmcnt(0)
	v_mov_b32_dpp v8, v7 row_shr:1 row_mask:0xf bank_mask:0xf
	v_cndmask_b32_e32 v8, 0, v8, vcc
	v_add_u32_e32 v7, v8, v7
	v_cmp_lt_u32_e32 vcc, 1, v1
	s_nop 0
	v_mov_b32_dpp v8, v7 row_shr:2 row_mask:0xf bank_mask:0xf
	v_cndmask_b32_e32 v1, 0, v8, vcc
	v_add_u32_e32 v1, v7, v1
	global_store_dword v6, v1, s[0:1]
.LBB0_4:
	s_or_b64 exec, exec, s[4:5]
	v_cmp_lt_u32_e32 vcc, 63, v0
	s_barrier
	s_and_saveexec_b64 s[4:5], vcc
	s_cbranch_execz .LBB0_6
; %bb.5:
	v_add_u32_e32 v0, -1, v4
	v_mov_b32_e32 v1, 0
	v_lshlrev_b64 v[0:1], 2, v[0:1]
	v_mov_b32_e32 v4, s1
	v_add_co_u32_e32 v0, vcc, s0, v0
	v_addc_co_u32_e32 v1, vcc, v4, v1, vcc
	global_load_dword v0, v[0:1], off
	s_waitcnt vmcnt(0)
	v_add_u32_e32 v5, v0, v5
.LBB0_6:
	s_or_b64 exec, exec, s[4:5]
	v_mov_b32_e32 v1, s3
	v_add_co_u32_e32 v0, vcc, s2, v2
	v_addc_co_u32_e32 v1, vcc, v1, v3, vcc
	global_store_dword v[0:1], v5, off
	s_endpgm
	.section	.rodata,"a",@progbits
	.p2align	6, 0x0
	.amdhsa_kernel _Z29example_global_memory_storageILj256EiEvPKT0_PS0_PN7rocprim17ROCPRIM_304000_NS10block_scanIS0_XT_ELNS5_20block_scan_algorithmE0ELj1ELj1EE12storage_typeE
		.amdhsa_group_segment_fixed_size 0
		.amdhsa_private_segment_fixed_size 0
		.amdhsa_kernarg_size 24
		.amdhsa_user_sgpr_count 6
		.amdhsa_user_sgpr_private_segment_buffer 1
		.amdhsa_user_sgpr_dispatch_ptr 0
		.amdhsa_user_sgpr_queue_ptr 0
		.amdhsa_user_sgpr_kernarg_segment_ptr 1
		.amdhsa_user_sgpr_dispatch_id 0
		.amdhsa_user_sgpr_flat_scratch_init 0
		.amdhsa_user_sgpr_kernarg_preload_length 0
		.amdhsa_user_sgpr_kernarg_preload_offset 0
		.amdhsa_user_sgpr_private_segment_size 0
		.amdhsa_uses_dynamic_stack 0
		.amdhsa_system_sgpr_private_segment_wavefront_offset 0
		.amdhsa_system_sgpr_workgroup_id_x 1
		.amdhsa_system_sgpr_workgroup_id_y 0
		.amdhsa_system_sgpr_workgroup_id_z 0
		.amdhsa_system_sgpr_workgroup_info 0
		.amdhsa_system_vgpr_workitem_id 0
		.amdhsa_next_free_vgpr 10
		.amdhsa_next_free_sgpr 10
		.amdhsa_accum_offset 12
		.amdhsa_reserve_vcc 1
		.amdhsa_reserve_flat_scratch 0
		.amdhsa_float_round_mode_32 0
		.amdhsa_float_round_mode_16_64 0
		.amdhsa_float_denorm_mode_32 3
		.amdhsa_float_denorm_mode_16_64 3
		.amdhsa_dx10_clamp 1
		.amdhsa_ieee_mode 1
		.amdhsa_fp16_overflow 0
		.amdhsa_tg_split 0
		.amdhsa_exception_fp_ieee_invalid_op 0
		.amdhsa_exception_fp_denorm_src 0
		.amdhsa_exception_fp_ieee_div_zero 0
		.amdhsa_exception_fp_ieee_overflow 0
		.amdhsa_exception_fp_ieee_underflow 0
		.amdhsa_exception_fp_ieee_inexact 0
		.amdhsa_exception_int_div_zero 0
	.end_amdhsa_kernel
	.section	.text._Z29example_global_memory_storageILj256EiEvPKT0_PS0_PN7rocprim17ROCPRIM_304000_NS10block_scanIS0_XT_ELNS5_20block_scan_algorithmE0ELj1ELj1EE12storage_typeE,"axG",@progbits,_Z29example_global_memory_storageILj256EiEvPKT0_PS0_PN7rocprim17ROCPRIM_304000_NS10block_scanIS0_XT_ELNS5_20block_scan_algorithmE0ELj1ELj1EE12storage_typeE,comdat
.Lfunc_end0:
	.size	_Z29example_global_memory_storageILj256EiEvPKT0_PS0_PN7rocprim17ROCPRIM_304000_NS10block_scanIS0_XT_ELNS5_20block_scan_algorithmE0ELj1ELj1EE12storage_typeE, .Lfunc_end0-_Z29example_global_memory_storageILj256EiEvPKT0_PS0_PN7rocprim17ROCPRIM_304000_NS10block_scanIS0_XT_ELNS5_20block_scan_algorithmE0ELj1ELj1EE12storage_typeE
                                        ; -- End function
	.section	.AMDGPU.csdata,"",@progbits
; Kernel info:
; codeLenInByte = 460
; NumSgprs: 14
; NumVgprs: 10
; NumAgprs: 0
; TotalNumVgprs: 10
; ScratchSize: 0
; MemoryBound: 0
; FloatMode: 240
; IeeeMode: 1
; LDSByteSize: 0 bytes/workgroup (compile time only)
; SGPRBlocks: 1
; VGPRBlocks: 1
; NumSGPRsForWavesPerEU: 14
; NumVGPRsForWavesPerEU: 10
; AccumOffset: 12
; Occupancy: 8
; WaveLimiterHint : 0
; COMPUTE_PGM_RSRC2:SCRATCH_EN: 0
; COMPUTE_PGM_RSRC2:USER_SGPR: 6
; COMPUTE_PGM_RSRC2:TRAP_HANDLER: 0
; COMPUTE_PGM_RSRC2:TGID_X_EN: 1
; COMPUTE_PGM_RSRC2:TGID_Y_EN: 0
; COMPUTE_PGM_RSRC2:TGID_Z_EN: 0
; COMPUTE_PGM_RSRC2:TIDIG_COMP_CNT: 0
; COMPUTE_PGM_RSRC3_GFX90A:ACCUM_OFFSET: 2
; COMPUTE_PGM_RSRC3_GFX90A:TG_SPLIT: 0
	.section	.text._Z21example_shared_memoryILj256EiEvPKT0_PS0_,"axG",@progbits,_Z21example_shared_memoryILj256EiEvPKT0_PS0_,comdat
	.protected	_Z21example_shared_memoryILj256EiEvPKT0_PS0_ ; -- Begin function _Z21example_shared_memoryILj256EiEvPKT0_PS0_
	.globl	_Z21example_shared_memoryILj256EiEvPKT0_PS0_
	.p2align	8
	.type	_Z21example_shared_memoryILj256EiEvPKT0_PS0_,@function
_Z21example_shared_memoryILj256EiEvPKT0_PS0_: ; @_Z21example_shared_memoryILj256EiEvPKT0_PS0_
; %bb.0:
	s_load_dwordx4 s[0:3], s[4:5], 0x0
	v_lshl_or_b32 v2, s6, 8, v0
	v_mov_b32_e32 v3, 0
	v_lshlrev_b64 v[2:3], 2, v[2:3]
	v_or_b32_e32 v6, 63, v0
	s_waitcnt lgkmcnt(0)
	v_mov_b32_e32 v1, s1
	v_add_co_u32_e32 v4, vcc, s0, v2
	v_addc_co_u32_e32 v5, vcc, v1, v3, vcc
	global_load_dword v5, v[4:5], off
	v_mbcnt_lo_u32_b32 v1, -1, 0
	v_mbcnt_hi_u32_b32 v1, -1, v1
	v_and_b32_e32 v7, 15, v1
	v_cmp_ne_u32_e32 vcc, 0, v7
	v_bfe_i32 v8, v1, 4, 1
	v_lshrrev_b32_e32 v4, 6, v0
	s_waitcnt vmcnt(0)
	v_mov_b32_dpp v9, v5 row_shr:1 row_mask:0xf bank_mask:0xf
	v_cndmask_b32_e32 v9, 0, v9, vcc
	v_add_u32_e32 v5, v9, v5
	v_cmp_lt_u32_e32 vcc, 1, v7
	s_nop 0
	v_mov_b32_dpp v9, v5 row_shr:2 row_mask:0xf bank_mask:0xf
	v_cndmask_b32_e32 v9, 0, v9, vcc
	v_add_u32_e32 v5, v5, v9
	v_cmp_lt_u32_e32 vcc, 3, v7
	s_nop 0
	;; [unrolled: 5-line block ×4, first 2 shown]
	v_mov_b32_dpp v7, v5 row_bcast:15 row_mask:0xf bank_mask:0xf
	v_and_b32_e32 v7, v8, v7
	v_add_u32_e32 v5, v5, v7
	s_nop 1
	v_mov_b32_dpp v7, v5 row_bcast:31 row_mask:0xf bank_mask:0xf
	v_cndmask_b32_e32 v7, 0, v7, vcc
	v_add_u32_e32 v5, v5, v7
	v_cmp_eq_u32_e32 vcc, v6, v0
	s_and_saveexec_b64 s[0:1], vcc
	s_cbranch_execz .LBB1_2
; %bb.1:
	v_lshlrev_b32_e32 v6, 2, v4
	ds_write_b32 v6, v5
.LBB1_2:
	s_or_b64 exec, exec, s[0:1]
	v_cmp_gt_u32_e32 vcc, 4, v0
	s_waitcnt lgkmcnt(0)
	s_barrier
	s_and_saveexec_b64 s[0:1], vcc
	s_cbranch_execz .LBB1_4
; %bb.3:
	v_lshlrev_b32_e32 v6, 2, v0
	ds_read_b32 v7, v6
	v_and_b32_e32 v1, 3, v1
	v_cmp_ne_u32_e32 vcc, 0, v1
	s_waitcnt lgkmcnt(0)
	v_mov_b32_dpp v8, v7 row_shr:1 row_mask:0xf bank_mask:0xf
	v_cndmask_b32_e32 v8, 0, v8, vcc
	v_add_u32_e32 v7, v8, v7
	v_cmp_lt_u32_e32 vcc, 1, v1
	s_nop 0
	v_mov_b32_dpp v8, v7 row_shr:2 row_mask:0xf bank_mask:0xf
	v_cndmask_b32_e32 v1, 0, v8, vcc
	v_add_u32_e32 v1, v7, v1
	ds_write_b32 v6, v1
.LBB1_4:
	s_or_b64 exec, exec, s[0:1]
	v_cmp_lt_u32_e32 vcc, 63, v0
	s_waitcnt lgkmcnt(0)
	s_barrier
	s_and_saveexec_b64 s[0:1], vcc
	s_cbranch_execz .LBB1_6
; %bb.5:
	v_lshl_add_u32 v0, v4, 2, -4
	ds_read_b32 v0, v0
	s_waitcnt lgkmcnt(0)
	v_add_u32_e32 v5, v0, v5
.LBB1_6:
	s_or_b64 exec, exec, s[0:1]
	v_mov_b32_e32 v1, s3
	v_add_co_u32_e32 v0, vcc, s2, v2
	v_addc_co_u32_e32 v1, vcc, v1, v3, vcc
	global_store_dword v[0:1], v5, off
	s_endpgm
	.section	.rodata,"a",@progbits
	.p2align	6, 0x0
	.amdhsa_kernel _Z21example_shared_memoryILj256EiEvPKT0_PS0_
		.amdhsa_group_segment_fixed_size 16
		.amdhsa_private_segment_fixed_size 0
		.amdhsa_kernarg_size 16
		.amdhsa_user_sgpr_count 6
		.amdhsa_user_sgpr_private_segment_buffer 1
		.amdhsa_user_sgpr_dispatch_ptr 0
		.amdhsa_user_sgpr_queue_ptr 0
		.amdhsa_user_sgpr_kernarg_segment_ptr 1
		.amdhsa_user_sgpr_dispatch_id 0
		.amdhsa_user_sgpr_flat_scratch_init 0
		.amdhsa_user_sgpr_kernarg_preload_length 0
		.amdhsa_user_sgpr_kernarg_preload_offset 0
		.amdhsa_user_sgpr_private_segment_size 0
		.amdhsa_uses_dynamic_stack 0
		.amdhsa_system_sgpr_private_segment_wavefront_offset 0
		.amdhsa_system_sgpr_workgroup_id_x 1
		.amdhsa_system_sgpr_workgroup_id_y 0
		.amdhsa_system_sgpr_workgroup_id_z 0
		.amdhsa_system_sgpr_workgroup_info 0
		.amdhsa_system_vgpr_workitem_id 0
		.amdhsa_next_free_vgpr 10
		.amdhsa_next_free_sgpr 7
		.amdhsa_accum_offset 12
		.amdhsa_reserve_vcc 1
		.amdhsa_reserve_flat_scratch 0
		.amdhsa_float_round_mode_32 0
		.amdhsa_float_round_mode_16_64 0
		.amdhsa_float_denorm_mode_32 3
		.amdhsa_float_denorm_mode_16_64 3
		.amdhsa_dx10_clamp 1
		.amdhsa_ieee_mode 1
		.amdhsa_fp16_overflow 0
		.amdhsa_tg_split 0
		.amdhsa_exception_fp_ieee_invalid_op 0
		.amdhsa_exception_fp_denorm_src 0
		.amdhsa_exception_fp_ieee_div_zero 0
		.amdhsa_exception_fp_ieee_overflow 0
		.amdhsa_exception_fp_ieee_underflow 0
		.amdhsa_exception_fp_ieee_inexact 0
		.amdhsa_exception_int_div_zero 0
	.end_amdhsa_kernel
	.section	.text._Z21example_shared_memoryILj256EiEvPKT0_PS0_,"axG",@progbits,_Z21example_shared_memoryILj256EiEvPKT0_PS0_,comdat
.Lfunc_end1:
	.size	_Z21example_shared_memoryILj256EiEvPKT0_PS0_, .Lfunc_end1-_Z21example_shared_memoryILj256EiEvPKT0_PS0_
                                        ; -- End function
	.section	.AMDGPU.csdata,"",@progbits
; Kernel info:
; codeLenInByte = 424
; NumSgprs: 11
; NumVgprs: 10
; NumAgprs: 0
; TotalNumVgprs: 10
; ScratchSize: 0
; MemoryBound: 0
; FloatMode: 240
; IeeeMode: 1
; LDSByteSize: 16 bytes/workgroup (compile time only)
; SGPRBlocks: 1
; VGPRBlocks: 1
; NumSGPRsForWavesPerEU: 11
; NumVGPRsForWavesPerEU: 10
; AccumOffset: 12
; Occupancy: 8
; WaveLimiterHint : 0
; COMPUTE_PGM_RSRC2:SCRATCH_EN: 0
; COMPUTE_PGM_RSRC2:USER_SGPR: 6
; COMPUTE_PGM_RSRC2:TRAP_HANDLER: 0
; COMPUTE_PGM_RSRC2:TGID_X_EN: 1
; COMPUTE_PGM_RSRC2:TGID_Y_EN: 0
; COMPUTE_PGM_RSRC2:TGID_Z_EN: 0
; COMPUTE_PGM_RSRC2:TIDIG_COMP_CNT: 0
; COMPUTE_PGM_RSRC3_GFX90A:ACCUM_OFFSET: 2
; COMPUTE_PGM_RSRC3_GFX90A:TG_SPLIT: 0
	.section	.text._Z27example_union_storage_typesILj256ELj4EiEvPKT1_PS0_,"axG",@progbits,_Z27example_union_storage_typesILj256ELj4EiEvPKT1_PS0_,comdat
	.protected	_Z27example_union_storage_typesILj256ELj4EiEvPKT1_PS0_ ; -- Begin function _Z27example_union_storage_typesILj256ELj4EiEvPKT1_PS0_
	.globl	_Z27example_union_storage_typesILj256ELj4EiEvPKT1_PS0_
	.p2align	8
	.type	_Z27example_union_storage_typesILj256ELj4EiEvPKT1_PS0_,@function
_Z27example_union_storage_typesILj256ELj4EiEvPKT1_PS0_: ; @_Z27example_union_storage_typesILj256ELj4EiEvPKT1_PS0_
; %bb.0:
	s_load_dwordx4 s[0:3], s[4:5], 0x0
	s_lshl_b32 s4, s6, 10
	s_ashr_i32 s5, s4, 31
	s_lshl_b64 s[4:5], s[4:5], 2
	v_lshlrev_b32_e32 v1, 2, v0
	s_waitcnt lgkmcnt(0)
	s_add_u32 s0, s0, s4
	s_addc_u32 s1, s1, s5
	global_load_dword v2, v1, s[0:1]
	global_load_dword v3, v1, s[0:1] offset:1024
	global_load_dword v4, v1, s[0:1] offset:2048
	;; [unrolled: 1-line block ×3, first 2 shown]
	v_lshrrev_b32_e32 v6, 3, v0
	v_or_b32_e32 v8, 0x100, v0
	v_or_b32_e32 v9, 0x200, v0
	;; [unrolled: 1-line block ×3, first 2 shown]
	v_and_b32_e32 v11, 28, v6
	v_lshrrev_b32_e32 v13, 3, v8
	v_lshrrev_b32_e32 v9, 3, v9
	;; [unrolled: 1-line block ×3, first 2 shown]
	v_add_lshl_u32 v15, v6, v1, 2
	v_add_u32_e32 v8, v11, v1
	v_and_b32_e32 v11, 60, v13
	v_and_b32_e32 v13, 0x5c, v9
	;; [unrolled: 1-line block ×3, first 2 shown]
	v_add_u32_e32 v9, v11, v1
	v_add_u32_e32 v10, v13, v1
	;; [unrolled: 1-line block ×3, first 2 shown]
	v_mbcnt_lo_u32_b32 v7, -1, 0
	v_mbcnt_hi_u32_b32 v7, -1, v7
	v_and_b32_e32 v16, 15, v7
	v_cmp_ne_u32_e32 vcc, 0, v16
	v_bfe_i32 v17, v7, 4, 1
	v_or_b32_e32 v14, 63, v0
	v_lshrrev_b32_e32 v12, 6, v0
	s_waitcnt vmcnt(3)
	ds_write_b32 v8, v2
	s_waitcnt vmcnt(2)
	ds_write_b32 v9, v3 offset:1024
	s_waitcnt vmcnt(1)
	ds_write_b32 v10, v4 offset:2048
	;; [unrolled: 2-line block ×3, first 2 shown]
	s_waitcnt lgkmcnt(0)
	s_barrier
	ds_read2_b32 v[4:5], v15 offset1:1
	ds_read2_b32 v[2:3], v15 offset0:2 offset1:3
	s_waitcnt lgkmcnt(0)
	s_barrier
	v_add_u32_e32 v13, v5, v4
	v_add3_u32 v13, v13, v2, v3
	s_nop 1
	v_mov_b32_dpp v15, v13 row_shr:1 row_mask:0xf bank_mask:0xf
	v_cndmask_b32_e32 v15, 0, v15, vcc
	v_add_u32_e32 v13, v15, v13
	v_cmp_lt_u32_e32 vcc, 1, v16
	s_nop 0
	v_mov_b32_dpp v15, v13 row_shr:2 row_mask:0xf bank_mask:0xf
	v_cndmask_b32_e32 v15, 0, v15, vcc
	v_add_u32_e32 v13, v13, v15
	v_cmp_lt_u32_e32 vcc, 3, v16
	s_nop 0
	v_mov_b32_dpp v15, v13 row_shr:4 row_mask:0xf bank_mask:0xf
	v_cndmask_b32_e32 v15, 0, v15, vcc
	v_add_u32_e32 v13, v13, v15
	v_cmp_lt_u32_e32 vcc, 7, v16
	s_nop 0
	v_mov_b32_dpp v15, v13 row_shr:8 row_mask:0xf bank_mask:0xf
	v_cndmask_b32_e32 v15, 0, v15, vcc
	v_add_u32_e32 v13, v13, v15
	v_cmp_lt_u32_e32 vcc, 31, v7
	s_nop 0
	v_mov_b32_dpp v15, v13 row_bcast:15 row_mask:0xf bank_mask:0xf
	v_and_b32_e32 v15, v17, v15
	v_add_u32_e32 v13, v13, v15
	s_nop 1
	v_mov_b32_dpp v15, v13 row_bcast:31 row_mask:0xf bank_mask:0xf
	v_cndmask_b32_e32 v15, 0, v15, vcc
	v_add_u32_e32 v13, v13, v15
	v_cmp_eq_u32_e32 vcc, v14, v0
	s_and_saveexec_b64 s[0:1], vcc
	s_cbranch_execz .LBB2_2
; %bb.1:
	v_lshlrev_b32_e32 v14, 2, v12
	ds_write_b32 v14, v13
.LBB2_2:
	s_or_b64 exec, exec, s[0:1]
	v_cmp_gt_u32_e32 vcc, 4, v0
	s_waitcnt lgkmcnt(0)
	s_barrier
	s_and_saveexec_b64 s[0:1], vcc
	s_cbranch_execz .LBB2_4
; %bb.3:
	ds_read_b32 v14, v1
	v_and_b32_e32 v15, 3, v7
	v_cmp_ne_u32_e32 vcc, 0, v15
	s_waitcnt lgkmcnt(0)
	v_mov_b32_dpp v16, v14 row_shr:1 row_mask:0xf bank_mask:0xf
	v_cndmask_b32_e32 v16, 0, v16, vcc
	v_add_u32_e32 v14, v16, v14
	v_cmp_lt_u32_e32 vcc, 1, v15
	s_nop 0
	v_mov_b32_dpp v16, v14 row_shr:2 row_mask:0xf bank_mask:0xf
	v_cndmask_b32_e32 v15, 0, v16, vcc
	v_add_u32_e32 v14, v14, v15
	ds_write_b32 v1, v14
.LBB2_4:
	s_or_b64 exec, exec, s[0:1]
	v_cmp_lt_u32_e32 vcc, 63, v0
	s_waitcnt lgkmcnt(0)
	s_barrier
	s_waitcnt lgkmcnt(0)
                                        ; implicit-def: $vgpr14
	s_and_saveexec_b64 s[0:1], vcc
	s_cbranch_execz .LBB2_6
; %bb.5:
	v_lshl_add_u32 v12, v12, 2, -4
	ds_read_b32 v14, v12
	s_waitcnt lgkmcnt(0)
	v_add_u32_e32 v13, v14, v13
.LBB2_6:
	s_or_b64 exec, exec, s[0:1]
	v_add_u32_e32 v12, -1, v7
	v_and_b32_e32 v15, 64, v7
	v_cmp_lt_i32_e32 vcc, v12, v15
	v_cndmask_b32_e32 v12, v12, v7, vcc
	v_lshlrev_b32_e32 v12, 2, v12
	ds_bpermute_b32 v12, v12, v13
	v_cmp_eq_u32_e32 vcc, 0, v7
	s_waitcnt lgkmcnt(0)
	s_barrier
	v_cndmask_b32_e32 v7, v12, v14, vcc
	v_cmp_ne_u32_e32 vcc, 0, v0
	v_cndmask_b32_e32 v7, 0, v7, vcc
	v_add_u32_e32 v4, v7, v4
	v_add_u32_e32 v5, v4, v5
	;; [unrolled: 1-line block ×3, first 2 shown]
	v_lshlrev_b32_e32 v0, 4, v0
	v_add_u32_e32 v3, v2, v3
	v_lshl_add_u32 v0, v6, 2, v0
	ds_write2_b32 v0, v4, v5 offset1:1
	ds_write2_b32 v0, v2, v3 offset0:2 offset1:3
	s_waitcnt lgkmcnt(0)
	s_barrier
	ds_read_b32 v0, v8
	ds_read_b32 v2, v9 offset:1024
	ds_read_b32 v3, v10 offset:2048
	;; [unrolled: 1-line block ×3, first 2 shown]
	s_add_u32 s0, s2, s4
	s_addc_u32 s1, s3, s5
	s_waitcnt lgkmcnt(3)
	global_store_dword v1, v0, s[0:1]
	s_waitcnt lgkmcnt(2)
	global_store_dword v1, v2, s[0:1] offset:1024
	s_waitcnt lgkmcnt(1)
	global_store_dword v1, v3, s[0:1] offset:2048
	;; [unrolled: 2-line block ×3, first 2 shown]
	s_endpgm
	.section	.rodata,"a",@progbits
	.p2align	6, 0x0
	.amdhsa_kernel _Z27example_union_storage_typesILj256ELj4EiEvPKT1_PS0_
		.amdhsa_group_segment_fixed_size 4224
		.amdhsa_private_segment_fixed_size 0
		.amdhsa_kernarg_size 16
		.amdhsa_user_sgpr_count 6
		.amdhsa_user_sgpr_private_segment_buffer 1
		.amdhsa_user_sgpr_dispatch_ptr 0
		.amdhsa_user_sgpr_queue_ptr 0
		.amdhsa_user_sgpr_kernarg_segment_ptr 1
		.amdhsa_user_sgpr_dispatch_id 0
		.amdhsa_user_sgpr_flat_scratch_init 0
		.amdhsa_user_sgpr_kernarg_preload_length 0
		.amdhsa_user_sgpr_kernarg_preload_offset 0
		.amdhsa_user_sgpr_private_segment_size 0
		.amdhsa_uses_dynamic_stack 0
		.amdhsa_system_sgpr_private_segment_wavefront_offset 0
		.amdhsa_system_sgpr_workgroup_id_x 1
		.amdhsa_system_sgpr_workgroup_id_y 0
		.amdhsa_system_sgpr_workgroup_id_z 0
		.amdhsa_system_sgpr_workgroup_info 0
		.amdhsa_system_vgpr_workitem_id 0
		.amdhsa_next_free_vgpr 19
		.amdhsa_next_free_sgpr 7
		.amdhsa_accum_offset 20
		.amdhsa_reserve_vcc 1
		.amdhsa_reserve_flat_scratch 0
		.amdhsa_float_round_mode_32 0
		.amdhsa_float_round_mode_16_64 0
		.amdhsa_float_denorm_mode_32 3
		.amdhsa_float_denorm_mode_16_64 3
		.amdhsa_dx10_clamp 1
		.amdhsa_ieee_mode 1
		.amdhsa_fp16_overflow 0
		.amdhsa_tg_split 0
		.amdhsa_exception_fp_ieee_invalid_op 0
		.amdhsa_exception_fp_denorm_src 0
		.amdhsa_exception_fp_ieee_div_zero 0
		.amdhsa_exception_fp_ieee_overflow 0
		.amdhsa_exception_fp_ieee_underflow 0
		.amdhsa_exception_fp_ieee_inexact 0
		.amdhsa_exception_int_div_zero 0
	.end_amdhsa_kernel
	.section	.text._Z27example_union_storage_typesILj256ELj4EiEvPKT1_PS0_,"axG",@progbits,_Z27example_union_storage_typesILj256ELj4EiEvPKT1_PS0_,comdat
.Lfunc_end2:
	.size	_Z27example_union_storage_typesILj256ELj4EiEvPKT1_PS0_, .Lfunc_end2-_Z27example_union_storage_typesILj256ELj4EiEvPKT1_PS0_
                                        ; -- End function
	.section	.AMDGPU.csdata,"",@progbits
; Kernel info:
; codeLenInByte = 792
; NumSgprs: 11
; NumVgprs: 19
; NumAgprs: 0
; TotalNumVgprs: 19
; ScratchSize: 0
; MemoryBound: 0
; FloatMode: 240
; IeeeMode: 1
; LDSByteSize: 4224 bytes/workgroup (compile time only)
; SGPRBlocks: 1
; VGPRBlocks: 2
; NumSGPRsForWavesPerEU: 11
; NumVGPRsForWavesPerEU: 19
; AccumOffset: 20
; Occupancy: 8
; WaveLimiterHint : 1
; COMPUTE_PGM_RSRC2:SCRATCH_EN: 0
; COMPUTE_PGM_RSRC2:USER_SGPR: 6
; COMPUTE_PGM_RSRC2:TRAP_HANDLER: 0
; COMPUTE_PGM_RSRC2:TGID_X_EN: 1
; COMPUTE_PGM_RSRC2:TGID_Y_EN: 0
; COMPUTE_PGM_RSRC2:TGID_Z_EN: 0
; COMPUTE_PGM_RSRC2:TIDIG_COMP_CNT: 0
; COMPUTE_PGM_RSRC3_GFX90A:ACCUM_OFFSET: 4
; COMPUTE_PGM_RSRC3_GFX90A:TG_SPLIT: 0
	.section	.text._Z29example_dynamic_shared_memoryILj256EiEvPKT0_PS0_,"axG",@progbits,_Z29example_dynamic_shared_memoryILj256EiEvPKT0_PS0_,comdat
	.protected	_Z29example_dynamic_shared_memoryILj256EiEvPKT0_PS0_ ; -- Begin function _Z29example_dynamic_shared_memoryILj256EiEvPKT0_PS0_
	.globl	_Z29example_dynamic_shared_memoryILj256EiEvPKT0_PS0_
	.p2align	8
	.type	_Z29example_dynamic_shared_memoryILj256EiEvPKT0_PS0_,@function
_Z29example_dynamic_shared_memoryILj256EiEvPKT0_PS0_: ; @_Z29example_dynamic_shared_memoryILj256EiEvPKT0_PS0_
; %bb.0:
	s_load_dwordx4 s[0:3], s[4:5], 0x0
	v_lshl_or_b32 v2, s6, 8, v0
	v_mov_b32_e32 v3, 0
	v_lshlrev_b64 v[2:3], 2, v[2:3]
	v_or_b32_e32 v6, 63, v0
	s_waitcnt lgkmcnt(0)
	v_mov_b32_e32 v1, s1
	v_add_co_u32_e32 v4, vcc, s0, v2
	v_addc_co_u32_e32 v5, vcc, v1, v3, vcc
	global_load_dword v5, v[4:5], off
	v_mbcnt_lo_u32_b32 v1, -1, 0
	v_mbcnt_hi_u32_b32 v1, -1, v1
	v_and_b32_e32 v7, 15, v1
	v_cmp_ne_u32_e32 vcc, 0, v7
	v_bfe_i32 v8, v1, 4, 1
	v_lshrrev_b32_e32 v4, 6, v0
	s_waitcnt vmcnt(0)
	v_mov_b32_dpp v9, v5 row_shr:1 row_mask:0xf bank_mask:0xf
	v_cndmask_b32_e32 v9, 0, v9, vcc
	v_add_u32_e32 v5, v9, v5
	v_cmp_lt_u32_e32 vcc, 1, v7
	s_nop 0
	v_mov_b32_dpp v9, v5 row_shr:2 row_mask:0xf bank_mask:0xf
	v_cndmask_b32_e32 v9, 0, v9, vcc
	v_add_u32_e32 v5, v5, v9
	v_cmp_lt_u32_e32 vcc, 3, v7
	s_nop 0
	;; [unrolled: 5-line block ×4, first 2 shown]
	v_mov_b32_dpp v7, v5 row_bcast:15 row_mask:0xf bank_mask:0xf
	v_and_b32_e32 v7, v8, v7
	v_add_u32_e32 v5, v5, v7
	s_nop 1
	v_mov_b32_dpp v7, v5 row_bcast:31 row_mask:0xf bank_mask:0xf
	v_cndmask_b32_e32 v7, 0, v7, vcc
	v_add_u32_e32 v5, v5, v7
	v_cmp_eq_u32_e32 vcc, v6, v0
	s_and_saveexec_b64 s[0:1], vcc
	s_cbranch_execz .LBB3_2
; %bb.1:
	v_lshl_add_u32 v6, v4, 2, 0
	ds_write_b32 v6, v5
.LBB3_2:
	s_or_b64 exec, exec, s[0:1]
	v_cmp_gt_u32_e32 vcc, 4, v0
	s_waitcnt lgkmcnt(0)
	s_barrier
	s_and_saveexec_b64 s[0:1], vcc
	s_cbranch_execz .LBB3_4
; %bb.3:
	v_lshl_add_u32 v6, v0, 2, 0
	ds_read_b32 v7, v6
	v_and_b32_e32 v1, 3, v1
	v_cmp_ne_u32_e32 vcc, 0, v1
	s_waitcnt lgkmcnt(0)
	v_mov_b32_dpp v8, v7 row_shr:1 row_mask:0xf bank_mask:0xf
	v_cndmask_b32_e32 v8, 0, v8, vcc
	v_add_u32_e32 v7, v8, v7
	v_cmp_lt_u32_e32 vcc, 1, v1
	s_nop 0
	v_mov_b32_dpp v8, v7 row_shr:2 row_mask:0xf bank_mask:0xf
	v_cndmask_b32_e32 v1, 0, v8, vcc
	v_add_u32_e32 v1, v7, v1
	ds_write_b32 v6, v1
.LBB3_4:
	s_or_b64 exec, exec, s[0:1]
	v_cmp_lt_u32_e32 vcc, 63, v0
	s_waitcnt lgkmcnt(0)
	s_barrier
	s_and_saveexec_b64 s[0:1], vcc
	s_cbranch_execz .LBB3_6
; %bb.5:
	v_lshlrev_b32_e32 v0, 2, v4
	v_add3_u32 v0, v0, 0, -4
	ds_read_b32 v0, v0
	s_waitcnt lgkmcnt(0)
	v_add_u32_e32 v5, v0, v5
.LBB3_6:
	s_or_b64 exec, exec, s[0:1]
	v_mov_b32_e32 v1, s3
	v_add_co_u32_e32 v0, vcc, s2, v2
	v_addc_co_u32_e32 v1, vcc, v1, v3, vcc
	global_store_dword v[0:1], v5, off
	s_endpgm
	.section	.rodata,"a",@progbits
	.p2align	6, 0x0
	.amdhsa_kernel _Z29example_dynamic_shared_memoryILj256EiEvPKT0_PS0_
		.amdhsa_group_segment_fixed_size 0
		.amdhsa_private_segment_fixed_size 0
		.amdhsa_kernarg_size 16
		.amdhsa_user_sgpr_count 6
		.amdhsa_user_sgpr_private_segment_buffer 1
		.amdhsa_user_sgpr_dispatch_ptr 0
		.amdhsa_user_sgpr_queue_ptr 0
		.amdhsa_user_sgpr_kernarg_segment_ptr 1
		.amdhsa_user_sgpr_dispatch_id 0
		.amdhsa_user_sgpr_flat_scratch_init 0
		.amdhsa_user_sgpr_kernarg_preload_length 0
		.amdhsa_user_sgpr_kernarg_preload_offset 0
		.amdhsa_user_sgpr_private_segment_size 0
		.amdhsa_uses_dynamic_stack 0
		.amdhsa_system_sgpr_private_segment_wavefront_offset 0
		.amdhsa_system_sgpr_workgroup_id_x 1
		.amdhsa_system_sgpr_workgroup_id_y 0
		.amdhsa_system_sgpr_workgroup_id_z 0
		.amdhsa_system_sgpr_workgroup_info 0
		.amdhsa_system_vgpr_workitem_id 0
		.amdhsa_next_free_vgpr 10
		.amdhsa_next_free_sgpr 7
		.amdhsa_accum_offset 12
		.amdhsa_reserve_vcc 1
		.amdhsa_reserve_flat_scratch 0
		.amdhsa_float_round_mode_32 0
		.amdhsa_float_round_mode_16_64 0
		.amdhsa_float_denorm_mode_32 3
		.amdhsa_float_denorm_mode_16_64 3
		.amdhsa_dx10_clamp 1
		.amdhsa_ieee_mode 1
		.amdhsa_fp16_overflow 0
		.amdhsa_tg_split 0
		.amdhsa_exception_fp_ieee_invalid_op 0
		.amdhsa_exception_fp_denorm_src 0
		.amdhsa_exception_fp_ieee_div_zero 0
		.amdhsa_exception_fp_ieee_overflow 0
		.amdhsa_exception_fp_ieee_underflow 0
		.amdhsa_exception_fp_ieee_inexact 0
		.amdhsa_exception_int_div_zero 0
	.end_amdhsa_kernel
	.section	.text._Z29example_dynamic_shared_memoryILj256EiEvPKT0_PS0_,"axG",@progbits,_Z29example_dynamic_shared_memoryILj256EiEvPKT0_PS0_,comdat
.Lfunc_end3:
	.size	_Z29example_dynamic_shared_memoryILj256EiEvPKT0_PS0_, .Lfunc_end3-_Z29example_dynamic_shared_memoryILj256EiEvPKT0_PS0_
                                        ; -- End function
	.section	.AMDGPU.csdata,"",@progbits
; Kernel info:
; codeLenInByte = 436
; NumSgprs: 11
; NumVgprs: 10
; NumAgprs: 0
; TotalNumVgprs: 10
; ScratchSize: 0
; MemoryBound: 0
; FloatMode: 240
; IeeeMode: 1
; LDSByteSize: 0 bytes/workgroup (compile time only)
; SGPRBlocks: 1
; VGPRBlocks: 1
; NumSGPRsForWavesPerEU: 11
; NumVGPRsForWavesPerEU: 10
; AccumOffset: 12
; Occupancy: 8
; WaveLimiterHint : 0
; COMPUTE_PGM_RSRC2:SCRATCH_EN: 0
; COMPUTE_PGM_RSRC2:USER_SGPR: 6
; COMPUTE_PGM_RSRC2:TRAP_HANDLER: 0
; COMPUTE_PGM_RSRC2:TGID_X_EN: 1
; COMPUTE_PGM_RSRC2:TGID_Y_EN: 0
; COMPUTE_PGM_RSRC2:TGID_Z_EN: 0
; COMPUTE_PGM_RSRC2:TIDIG_COMP_CNT: 0
; COMPUTE_PGM_RSRC3_GFX90A:ACCUM_OFFSET: 2
; COMPUTE_PGM_RSRC3_GFX90A:TG_SPLIT: 0
	.text
	.p2alignl 6, 3212836864
	.fill 256, 4, 3212836864
	.type	__hip_cuid_bfcb949889ed7a48,@object ; @__hip_cuid_bfcb949889ed7a48
	.section	.bss,"aw",@nobits
	.globl	__hip_cuid_bfcb949889ed7a48
__hip_cuid_bfcb949889ed7a48:
	.byte	0                               ; 0x0
	.size	__hip_cuid_bfcb949889ed7a48, 1

	.ident	"AMD clang version 19.0.0git (https://github.com/RadeonOpenCompute/llvm-project roc-6.4.0 25133 c7fe45cf4b819c5991fe208aaa96edf142730f1d)"
	.section	".note.GNU-stack","",@progbits
	.addrsig
	.addrsig_sym __hip_cuid_bfcb949889ed7a48
	.amdgpu_metadata
---
amdhsa.kernels:
  - .agpr_count:     0
    .args:
      - .address_space:  global
        .offset:         0
        .size:           8
        .value_kind:     global_buffer
      - .address_space:  global
        .offset:         8
        .size:           8
        .value_kind:     global_buffer
      - .address_space:  global
        .offset:         16
        .size:           8
        .value_kind:     global_buffer
    .group_segment_fixed_size: 0
    .kernarg_segment_align: 8
    .kernarg_segment_size: 24
    .language:       OpenCL C
    .language_version:
      - 2
      - 0
    .max_flat_workgroup_size: 256
    .name:           _Z29example_global_memory_storageILj256EiEvPKT0_PS0_PN7rocprim17ROCPRIM_304000_NS10block_scanIS0_XT_ELNS5_20block_scan_algorithmE0ELj1ELj1EE12storage_typeE
    .private_segment_fixed_size: 0
    .sgpr_count:     14
    .sgpr_spill_count: 0
    .symbol:         _Z29example_global_memory_storageILj256EiEvPKT0_PS0_PN7rocprim17ROCPRIM_304000_NS10block_scanIS0_XT_ELNS5_20block_scan_algorithmE0ELj1ELj1EE12storage_typeE.kd
    .uniform_work_group_size: 1
    .uses_dynamic_stack: false
    .vgpr_count:     10
    .vgpr_spill_count: 0
    .wavefront_size: 64
  - .agpr_count:     0
    .args:
      - .address_space:  global
        .offset:         0
        .size:           8
        .value_kind:     global_buffer
      - .address_space:  global
        .offset:         8
        .size:           8
        .value_kind:     global_buffer
    .group_segment_fixed_size: 16
    .kernarg_segment_align: 8
    .kernarg_segment_size: 16
    .language:       OpenCL C
    .language_version:
      - 2
      - 0
    .max_flat_workgroup_size: 256
    .name:           _Z21example_shared_memoryILj256EiEvPKT0_PS0_
    .private_segment_fixed_size: 0
    .sgpr_count:     11
    .sgpr_spill_count: 0
    .symbol:         _Z21example_shared_memoryILj256EiEvPKT0_PS0_.kd
    .uniform_work_group_size: 1
    .uses_dynamic_stack: false
    .vgpr_count:     10
    .vgpr_spill_count: 0
    .wavefront_size: 64
  - .agpr_count:     0
    .args:
      - .address_space:  global
        .offset:         0
        .size:           8
        .value_kind:     global_buffer
      - .address_space:  global
        .offset:         8
        .size:           8
        .value_kind:     global_buffer
    .group_segment_fixed_size: 4224
    .kernarg_segment_align: 8
    .kernarg_segment_size: 16
    .language:       OpenCL C
    .language_version:
      - 2
      - 0
    .max_flat_workgroup_size: 256
    .name:           _Z27example_union_storage_typesILj256ELj4EiEvPKT1_PS0_
    .private_segment_fixed_size: 0
    .sgpr_count:     11
    .sgpr_spill_count: 0
    .symbol:         _Z27example_union_storage_typesILj256ELj4EiEvPKT1_PS0_.kd
    .uniform_work_group_size: 1
    .uses_dynamic_stack: false
    .vgpr_count:     19
    .vgpr_spill_count: 0
    .wavefront_size: 64
  - .agpr_count:     0
    .args:
      - .address_space:  global
        .offset:         0
        .size:           8
        .value_kind:     global_buffer
      - .address_space:  global
        .offset:         8
        .size:           8
        .value_kind:     global_buffer
    .group_segment_fixed_size: 0
    .kernarg_segment_align: 8
    .kernarg_segment_size: 16
    .language:       OpenCL C
    .language_version:
      - 2
      - 0
    .max_flat_workgroup_size: 256
    .name:           _Z29example_dynamic_shared_memoryILj256EiEvPKT0_PS0_
    .private_segment_fixed_size: 0
    .sgpr_count:     11
    .sgpr_spill_count: 0
    .symbol:         _Z29example_dynamic_shared_memoryILj256EiEvPKT0_PS0_.kd
    .uniform_work_group_size: 1
    .uses_dynamic_stack: false
    .vgpr_count:     10
    .vgpr_spill_count: 0
    .wavefront_size: 64
amdhsa.target:   amdgcn-amd-amdhsa--gfx90a
amdhsa.version:
  - 1
  - 2
...

	.end_amdgpu_metadata
